;; amdgpu-corpus repo=ROCm/rocFFT kind=compiled arch=gfx1100 opt=O3
	.text
	.amdgcn_target "amdgcn-amd-amdhsa--gfx1100"
	.amdhsa_code_object_version 6
	.protected	fft_rtc_fwd_len625_factors_5_5_5_5_wgs_125_tpt_125_sp_op_CI_CI_sbrc_z_xy_diag ; -- Begin function fft_rtc_fwd_len625_factors_5_5_5_5_wgs_125_tpt_125_sp_op_CI_CI_sbrc_z_xy_diag
	.globl	fft_rtc_fwd_len625_factors_5_5_5_5_wgs_125_tpt_125_sp_op_CI_CI_sbrc_z_xy_diag
	.p2align	8
	.type	fft_rtc_fwd_len625_factors_5_5_5_5_wgs_125_tpt_125_sp_op_CI_CI_sbrc_z_xy_diag,@function
fft_rtc_fwd_len625_factors_5_5_5_5_wgs_125_tpt_125_sp_op_CI_CI_sbrc_z_xy_diag: ; @fft_rtc_fwd_len625_factors_5_5_5_5_wgs_125_tpt_125_sp_op_CI_CI_sbrc_z_xy_diag
; %bb.0:
	s_load_b256 s[4:11], s[0:1], 0x0
	v_add_nc_u32_e32 v4, 0x1f4, v0
	v_mov_b32_e32 v3, 0x7d
	v_cmp_gt_u32_e32 vcc_lo, 0x1f4, v0
	v_add_nc_u32_e32 v21, 0xfa, v0
	v_add_nc_u32_e32 v22, 0x177, v0
	v_mul_u32_u24_e32 v5, 0x69, v4
	v_dual_mov_b32 v2, 0 :: v_dual_cndmask_b32 v3, 0xfffffe0c, v3
	v_cmp_gt_u32_e32 vcc_lo, 0x271, v0
	s_delay_alu instid0(VALU_DEP_3) | instskip(NEXT) | instid1(VALU_DEP_3)
	v_lshrrev_b32_e32 v17, 16, v5
	v_add_nc_u32_e32 v20, v0, v3
	s_delay_alu instid0(VALU_DEP_2)
	v_mul_lo_u16 v5, 0x271, v17
	s_waitcnt lgkmcnt(0)
	s_load_b128 s[16:19], s[8:9], 0x8
	s_waitcnt lgkmcnt(0)
	s_mul_i32 s13, s18, s16
	s_clause 0x1
	s_load_b128 s[16:19], s[0:1], 0x58
	s_load_b64 s[8:9], s[0:1], 0x20
	v_cvt_f32_u32_e32 v1, s13
	s_sub_i32 s0, 0, s13
	s_load_b128 s[20:23], s[10:11], 0x0
	s_delay_alu instid0(VALU_DEP_1) | instskip(SKIP_2) | instid1(VALU_DEP_1)
	v_rcp_iflag_f32_e32 v1, v1
	s_waitcnt_depctr 0xfff
	v_mul_f32_e32 v1, 0x4f7ffffe, v1
	v_cvt_u32_f32_e32 v1, v1
	s_delay_alu instid0(VALU_DEP_1) | instskip(SKIP_1) | instid1(VALU_DEP_2)
	v_readfirstlane_b32 s2, v1
	v_add_nc_u32_e32 v1, 0xfffffd8f, v0
	s_mul_i32 s0, s0, s2
	s_delay_alu instid0(VALU_DEP_1)
	v_cndmask_b32_e32 v19, v1, v0, vcc_lo
	s_mul_hi_u32 s0, s2, s0
	v_sub_nc_u16 v1, v4, v5
	s_add_i32 s2, s2, s0
	v_cmp_lt_u32_e32 vcc_lo, 0x270, v0
	s_mul_hi_u32 s0, s15, s2
	s_delay_alu instid0(VALU_DEP_2) | instskip(SKIP_3) | instid1(SALU_CYCLE_1)
	v_and_b32_e32 v23, 0xffff, v1
	s_mul_i32 s1, s0, s13
	s_add_i32 s2, s0, 1
	s_sub_i32 s1, s15, s1
	s_sub_i32 s3, s1, s13
	s_cmp_ge_u32 s1, s13
	s_cselect_b32 s0, s2, s0
	s_cselect_b32 s1, s3, s1
	s_add_i32 s2, s0, 1
	s_cmp_ge_u32 s1, s13
	s_cselect_b32 s12, s2, s0
	s_waitcnt lgkmcnt(0)
	s_load_b128 s[0:3], s[8:9], 0x0
	s_waitcnt lgkmcnt(0)
	s_mul_i32 s3, s12, s13
	s_lshl_b64 s[24:25], s[6:7], 3
	s_sub_i32 s3, s15, s3
	s_load_b32 s15, s[10:11], 0x10
	s_mul_hi_u32 s13, s3, 0x10624dd3
	v_cndmask_b32_e64 v1, 0, s22, vcc_lo
	s_lshr_b32 s13, s13, 3
	v_cmp_lt_u32_e32 vcc_lo, 0x1f3, v0
	s_mul_i32 s14, s13, 0x7d
	v_mad_u64_u32 v[3:4], null, s20, v19, 0
	s_sub_i32 s3, s3, s14
	s_load_b32 s14, s[8:9], 0x10
	s_add_i32 s13, s13, s3
	s_mul_i32 s7, s3, s22
	s_mul_hi_u32 s23, s13, 0xd1b71759
	v_mad_u64_u32 v[5:6], null, s20, v20, 0
	s_lshr_b32 s6, s23, 9
	s_mul_i32 s1, s1, s3
	s_mulk_i32 s6, 0x271
	v_mad_u64_u32 v[7:8], null, s20, v21, 0
	s_sub_i32 s13, s13, s6
	s_mul_hi_u32 s6, s0, s3
	s_waitcnt lgkmcnt(0)
	s_mul_i32 s15, s13, s15
	s_add_i32 s1, s6, s1
	s_add_i32 s6, s15, s7
	s_add_u32 s10, s10, s24
	s_addc_u32 s11, s11, s25
	v_lshlrev_b64 v[13:14], 3, v[1:2]
	s_load_b64 s[10:11], s[10:11], 0x0
	v_cndmask_b32_e64 v1, 0, s22, vcc_lo
	v_mad_u64_u32 v[9:10], null, s20, v22, 0
	v_mad_u64_u32 v[11:12], null, s20, v23, 0
	s_delay_alu instid0(VALU_DEP_3)
	v_lshlrev_b64 v[15:16], 3, v[1:2]
	v_mul_lo_u32 v1, s22, v17
	v_mad_u64_u32 v[17:18], null, s21, v19, v[4:5]
	v_mad_u64_u32 v[18:19], null, s21, v20, v[6:7]
	;; [unrolled: 1-line block ×4, first 2 shown]
	s_delay_alu instid0(VALU_DEP_4)
	v_mov_b32_e32 v4, v17
	v_mad_u64_u32 v[21:22], null, s21, v23, v[12:13]
	v_mov_b32_e32 v6, v18
	s_waitcnt lgkmcnt(0)
	s_mul_i32 s7, s11, s12
	s_mul_hi_u32 s11, s10, s12
	s_mul_i32 s10, s10, s12
	s_add_i32 s11, s11, s7
	s_add_u32 s8, s8, s24
	v_mov_b32_e32 v12, v21
	s_addc_u32 s9, s9, s25
	s_lshl_b64 s[10:11], s[10:11], 3
	s_load_b64 s[8:9], s[8:9], 0x0
	s_mov_b32 s7, 0
	v_lshlrev_b64 v[3:4], 3, v[3:4]
	v_mov_b32_e32 v8, v19
	v_lshlrev_b64 v[5:6], 3, v[5:6]
	v_mov_b32_e32 v10, v20
	v_lshlrev_b64 v[22:23], 3, v[1:2]
	v_lshlrev_b64 v[11:12], 3, v[11:12]
	;; [unrolled: 1-line block ×3, first 2 shown]
	s_mul_i32 s0, s0, s3
	v_lshlrev_b64 v[9:10], 3, v[9:10]
	s_waitcnt lgkmcnt(0)
	s_mul_i32 s9, s9, s12
	s_mul_hi_u32 s15, s8, s12
	s_mul_i32 s8, s8, s12
	s_add_i32 s9, s15, s9
	s_add_u32 s15, s16, s10
	s_addc_u32 s16, s17, s11
	s_lshl_b64 s[10:11], s[6:7], 3
	s_delay_alu instid0(SALU_CYCLE_1)
	s_add_u32 s6, s15, s10
	s_addc_u32 s10, s16, s11
	v_add_co_u32 v1, vcc_lo, s6, v3
	v_add_co_ci_u32_e32 v17, vcc_lo, s10, v4, vcc_lo
	v_add_co_u32 v18, vcc_lo, s6, v5
	v_add_co_ci_u32_e32 v19, vcc_lo, s10, v6, vcc_lo
	;; [unrolled: 2-line block ×8, first 2 shown]
	s_clause 0x4
	global_load_b64 v[7:8], v[7:8], off
	global_load_b64 v[9:10], v[9:10], off
	;; [unrolled: 1-line block ×5, first 2 shown]
	v_mul_u32_u24_e32 v1, 0x20d, v0
	v_lshl_add_u32 v3, v0, 3, 0
	s_mul_i32 s6, s13, s2
	s_delay_alu instid0(VALU_DEP_2) | instskip(NEXT) | instid1(VALU_DEP_2)
	v_lshrrev_b32_e32 v1, 16, v1
	v_add_nc_u32_e32 v4, 0x400, v3
	s_waitcnt vmcnt(3)
	ds_store_2addr_b64 v3, v[7:8], v[9:10] offset1:125
	s_waitcnt vmcnt(1)
	ds_store_2addr_b64 v4, v[13:14], v[15:16] offset0:122 offset1:247
	s_waitcnt vmcnt(0)
	ds_store_b64 v3, v[11:12] offset:4000
	v_mul_lo_u16 v1, 0x7d, v1
	s_waitcnt lgkmcnt(0)
	s_barrier
	buffer_gl0_inv
	v_sub_nc_u16 v1, v0, v1
	s_delay_alu instid0(VALU_DEP_1) | instskip(SKIP_1) | instid1(VALU_DEP_2)
	v_and_b32_e32 v17, 0xffff, v1
	v_mul_lo_u16 v6, 0x67, v1
	v_lshl_add_u32 v5, v17, 3, 0
	s_delay_alu instid0(VALU_DEP_2) | instskip(NEXT) | instid1(VALU_DEP_2)
	v_lshrrev_b16 v23, 9, v6
	v_add_nc_u32_e32 v6, 0x400, v5
	ds_load_2addr_b64 v[7:10], v5 offset1:125
	ds_load_2addr_b64 v[11:14], v6 offset0:122 offset1:247
	ds_load_b64 v[15:16], v5 offset:4000
	v_mul_lo_u16 v18, v23, 5
	s_waitcnt lgkmcnt(0)
	s_barrier
	buffer_gl0_inv
	v_sub_nc_u16 v18, v1, v18
	s_delay_alu instid0(VALU_DEP_1) | instskip(SKIP_4) | instid1(VALU_DEP_3)
	v_dual_add_f32 v19, v7, v9 :: v_dual_and_b32 v24, 0xff, v18
	v_dual_sub_f32 v29, v11, v9 :: v_dual_sub_f32 v22, v12, v14
	v_dual_sub_f32 v26, v9, v11 :: v_dual_lshlrev_b32 v25, 5, v17
	v_dual_add_f32 v20, v11, v13 :: v_dual_sub_f32 v35, v10, v12
	v_dual_add_f32 v28, v9, v15 :: v_dual_add_f32 v37, v10, v16
	v_dual_add_f32 v32, v12, v14 :: v_dual_add_nc_u32 v17, v5, v25
	v_dual_add_f32 v31, v8, v10 :: v_dual_lshlrev_b32 v18, 5, v24
	v_sub_f32_e32 v33, v9, v15
	v_sub_f32_e32 v21, v10, v16
	v_dual_sub_f32 v27, v15, v13 :: v_dual_sub_f32 v30, v13, v15
	v_dual_sub_f32 v39, v14, v16 :: v_dual_sub_f32 v34, v11, v13
	v_dual_sub_f32 v36, v16, v14 :: v_dual_add_f32 v11, v19, v11
	v_fma_f32 v9, -0.5, v20, v7
	v_sub_f32_e32 v38, v12, v10
	v_fma_f32 v7, -0.5, v28, v7
	v_add_f32_e32 v12, v31, v12
	v_fma_f32 v10, -0.5, v32, v8
	v_fma_f32 v8, -0.5, v37, v8
	v_dual_add_f32 v19, v26, v27 :: v_dual_add_f32 v26, v35, v36
	v_dual_add_f32 v28, v11, v13 :: v_dual_fmamk_f32 v11, v21, 0x3f737871, v9
	v_dual_add_f32 v20, v29, v30 :: v_dual_add_f32 v27, v38, v39
	v_fmac_f32_e32 v9, 0xbf737871, v21
	v_fmamk_f32 v13, v22, 0xbf737871, v7
	v_fmac_f32_e32 v7, 0x3f737871, v22
	v_dual_add_f32 v29, v12, v14 :: v_dual_fmamk_f32 v12, v33, 0xbf737871, v10
	v_fmamk_f32 v14, v34, 0x3f737871, v8
	v_fmac_f32_e32 v8, 0xbf737871, v34
	v_dual_fmac_f32 v10, 0x3f737871, v33 :: v_dual_add_f32 v15, v28, v15
	s_delay_alu instid0(VALU_DEP_4) | instskip(SKIP_2) | instid1(VALU_DEP_4)
	v_dual_fmac_f32 v11, 0x3f167918, v22 :: v_dual_add_f32 v16, v29, v16
	v_dual_fmac_f32 v7, 0xbf167918, v21 :: v_dual_fmac_f32 v12, 0xbf167918, v34
	v_dual_fmac_f32 v9, 0xbf167918, v22 :: v_dual_fmac_f32 v14, 0xbf167918, v33
	;; [unrolled: 1-line block ×3, first 2 shown]
	v_fmac_f32_e32 v8, 0x3f167918, v33
	s_delay_alu instid0(VALU_DEP_4) | instskip(NEXT) | instid1(VALU_DEP_3)
	v_dual_fmac_f32 v11, 0x3e9e377a, v19 :: v_dual_fmac_f32 v12, 0x3e9e377a, v26
	v_dual_fmac_f32 v13, 0x3e9e377a, v20 :: v_dual_fmac_f32 v14, 0x3e9e377a, v27
	s_delay_alu instid0(VALU_DEP_3)
	v_dual_fmac_f32 v7, 0x3e9e377a, v20 :: v_dual_fmac_f32 v8, 0x3e9e377a, v27
	v_dual_fmac_f32 v9, 0x3e9e377a, v19 :: v_dual_fmac_f32 v10, 0x3e9e377a, v26
	ds_store_2addr_b64 v17, v[15:16], v[11:12] offset1:1
	ds_store_2addr_b64 v17, v[13:14], v[7:8] offset0:2 offset1:3
	ds_store_b64 v17, v[9:10] offset:32
	s_waitcnt lgkmcnt(0)
	s_barrier
	buffer_gl0_inv
	s_clause 0x1
	global_load_b128 v[7:10], v18, s[4:5]
	global_load_b128 v[11:14], v18, s[4:5] offset:16
	v_mul_lo_u16 v15, v1, 41
	v_lshlrev_b32_e32 v28, 3, v24
	s_delay_alu instid0(VALU_DEP_2) | instskip(SKIP_4) | instid1(VALU_DEP_1)
	v_lshrrev_b16 v26, 10, v15
	ds_load_2addr_b64 v[15:18], v5 offset0:125 offset1:250
	v_and_b32_e32 v23, 0xffff, v23
	v_add_nc_u32_e32 v31, 0x800, v5
	v_mul_lo_u16 v27, v26, 25
	v_sub_nc_u16 v1, v1, v27
	s_waitcnt vmcnt(1) lgkmcnt(0)
	s_delay_alu instid0(VALU_DEP_1)
	v_dual_mul_f32 v30, v10, v18 :: v_dual_and_b32 v1, 0xff, v1
	v_mul_u32_u24_e32 v27, 0xc8, v23
	ds_load_2addr_b32 v[23:24], v5 offset1:1
	v_add3_u32 v27, 0, v27, v28
	v_mul_f32_e32 v28, v8, v16
	v_mul_f32_e32 v8, v8, v15
	ds_load_2addr_b64 v[19:22], v31 offset0:119 offset1:244
	v_lshlrev_b32_e32 v29, 5, v1
	v_lshlrev_b32_e32 v1, 3, v1
	v_fma_f32 v15, v7, v15, -v28
	v_fmac_f32_e32 v8, v7, v16
	v_fma_f32 v7, v9, v17, -v30
	v_mul_f32_e32 v10, v10, v17
	s_waitcnt vmcnt(0) lgkmcnt(0)
	s_barrier
	buffer_gl0_inv
	v_fmac_f32_e32 v10, v9, v18
	v_mul_f32_e32 v33, v14, v22
	v_mul_f32_e32 v14, v14, v21
	s_delay_alu instid0(VALU_DEP_1) | instskip(NEXT) | instid1(VALU_DEP_3)
	v_fmac_f32_e32 v14, v13, v22
	v_fma_f32 v13, v13, v21, -v33
	v_mul_f32_e32 v32, v12, v20
	v_mul_f32_e32 v12, v12, v19
	v_sub_f32_e32 v22, v7, v15
	s_delay_alu instid0(VALU_DEP_4) | instskip(NEXT) | instid1(VALU_DEP_4)
	v_add_f32_e32 v21, v15, v13
	v_fma_f32 v9, v11, v19, -v32
	s_delay_alu instid0(VALU_DEP_4)
	v_fmac_f32_e32 v12, v11, v20
	v_add_f32_e32 v11, v15, v23
	v_sub_f32_e32 v19, v15, v7
	v_sub_f32_e32 v15, v15, v13
	;; [unrolled: 1-line block ×3, first 2 shown]
	v_dual_sub_f32 v37, v10, v8 :: v_dual_add_f32 v16, v7, v9
	v_add_f32_e32 v11, v11, v7
	s_delay_alu instid0(VALU_DEP_2) | instskip(SKIP_3) | instid1(VALU_DEP_1)
	v_fma_f32 v7, -0.5, v16, v23
	v_fma_f32 v23, -0.5, v21, v23
	v_sub_f32_e32 v28, v9, v13
	v_sub_f32_e32 v20, v13, v9
	v_add_f32_e32 v16, v19, v20
	s_delay_alu instid0(VALU_DEP_3) | instskip(NEXT) | instid1(VALU_DEP_1)
	v_dual_sub_f32 v38, v12, v14 :: v_dual_add_f32 v19, v22, v28
	v_dual_add_f32 v22, v11, v9 :: v_dual_add_f32 v21, v37, v38
	v_sub_f32_e32 v17, v8, v14
	s_delay_alu instid0(VALU_DEP_1) | instskip(SKIP_2) | instid1(VALU_DEP_3)
	v_dual_fmamk_f32 v9, v17, 0x3f737871, v7 :: v_dual_sub_f32 v18, v10, v12
	v_dual_fmac_f32 v7, 0xbf737871, v17 :: v_dual_add_f32 v32, v10, v12
	v_sub_f32_e32 v35, v14, v12
	v_fmac_f32_e32 v9, 0x3f167918, v18
	v_fmamk_f32 v11, v18, 0xbf737871, v23
	v_fmac_f32_e32 v23, 0x3f737871, v18
	v_add_f32_e32 v36, v8, v14
	v_sub_f32_e32 v34, v8, v10
	v_fmac_f32_e32 v7, 0xbf167918, v18
	v_fmac_f32_e32 v11, 0x3f167918, v17
	;; [unrolled: 1-line block ×3, first 2 shown]
	s_delay_alu instid0(VALU_DEP_4) | instskip(NEXT) | instid1(VALU_DEP_4)
	v_dual_fmac_f32 v9, 0x3e9e377a, v16 :: v_dual_add_f32 v20, v34, v35
	v_fmac_f32_e32 v7, 0x3e9e377a, v16
	s_delay_alu instid0(VALU_DEP_4) | instskip(NEXT) | instid1(VALU_DEP_4)
	v_fmac_f32_e32 v11, 0x3e9e377a, v19
	v_dual_fmac_f32 v23, 0x3e9e377a, v19 :: v_dual_add_f32 v30, v24, v8
	v_add_f32_e32 v13, v22, v13
	v_fma_f32 v8, -0.5, v32, v24
	v_fmac_f32_e32 v24, -0.5, v36
	s_delay_alu instid0(VALU_DEP_4) | instskip(NEXT) | instid1(VALU_DEP_1)
	v_add_f32_e32 v10, v30, v10
	v_add_f32_e32 v28, v10, v12
	s_delay_alu instid0(VALU_DEP_4) | instskip(NEXT) | instid1(VALU_DEP_4)
	v_fmamk_f32 v10, v15, 0xbf737871, v8
	v_fmamk_f32 v12, v33, 0x3f737871, v24
	v_fmac_f32_e32 v24, 0xbf737871, v33
	v_fmac_f32_e32 v8, 0x3f737871, v15
	v_add_f32_e32 v14, v28, v14
	v_fmac_f32_e32 v10, 0xbf167918, v33
	v_fmac_f32_e32 v12, 0xbf167918, v15
	;; [unrolled: 1-line block ×4, first 2 shown]
	s_delay_alu instid0(VALU_DEP_4) | instskip(NEXT) | instid1(VALU_DEP_4)
	v_fmac_f32_e32 v10, 0x3e9e377a, v20
	v_fmac_f32_e32 v12, 0x3e9e377a, v21
	s_delay_alu instid0(VALU_DEP_4) | instskip(NEXT) | instid1(VALU_DEP_4)
	v_fmac_f32_e32 v24, 0x3e9e377a, v21
	v_fmac_f32_e32 v8, 0x3e9e377a, v20
	ds_store_2addr_b64 v27, v[13:14], v[9:10] offset1:5
	ds_store_2addr_b64 v27, v[11:12], v[23:24] offset0:10 offset1:15
	ds_store_b64 v27, v[7:8] offset:160
	s_waitcnt lgkmcnt(0)
	s_barrier
	buffer_gl0_inv
	s_clause 0x1
	global_load_b128 v[7:10], v29, s[4:5] offset:160
	global_load_b128 v[11:14], v29, s[4:5] offset:176
	ds_load_2addr_b64 v[15:18], v5 offset0:125 offset1:250
	ds_load_2addr_b64 v[19:22], v31 offset0:119 offset1:244
	v_and_b32_e32 v23, 0xffff, v26
	s_delay_alu instid0(VALU_DEP_1)
	v_mul_u32_u24_e32 v26, 0x3e8, v23
	ds_load_2addr_b32 v[23:24], v5 offset1:1
	s_waitcnt vmcnt(0) lgkmcnt(0)
	s_barrier
	buffer_gl0_inv
	v_add3_u32 v1, 0, v26, v1
	v_mul_f32_e32 v27, v10, v18
	v_mul_f32_e32 v10, v10, v17
	;; [unrolled: 1-line block ×3, first 2 shown]
	v_dual_mul_f32 v12, v12, v19 :: v_dual_mul_f32 v29, v14, v22
	s_delay_alu instid0(VALU_DEP_3) | instskip(NEXT) | instid1(VALU_DEP_2)
	v_fmac_f32_e32 v10, v9, v18
	v_fmac_f32_e32 v12, v11, v20
	s_delay_alu instid0(VALU_DEP_1) | instskip(SKIP_1) | instid1(VALU_DEP_1)
	v_sub_f32_e32 v18, v10, v12
	v_mul_f32_e32 v14, v14, v21
	v_fmac_f32_e32 v14, v13, v22
	v_fma_f32 v13, v13, v21, -v29
	s_delay_alu instid0(VALU_DEP_2) | instskip(SKIP_2) | instid1(VALU_DEP_2)
	v_sub_f32_e32 v35, v12, v14
	v_mul_f32_e32 v26, v8, v16
	v_mul_f32_e32 v8, v8, v15
	v_fma_f32 v15, v7, v15, -v26
	s_delay_alu instid0(VALU_DEP_2) | instskip(SKIP_2) | instid1(VALU_DEP_4)
	v_fmac_f32_e32 v8, v7, v16
	v_fma_f32 v7, v9, v17, -v27
	v_fma_f32 v9, v11, v19, -v28
	v_add_f32_e32 v11, v15, v23
	v_add_f32_e32 v21, v15, v13
	s_delay_alu instid0(VALU_DEP_4) | instskip(NEXT) | instid1(VALU_DEP_4)
	v_sub_f32_e32 v19, v15, v7
	v_add_f32_e32 v16, v7, v9
	v_sub_f32_e32 v20, v13, v9
	v_sub_f32_e32 v22, v7, v15
	v_dual_sub_f32 v26, v9, v13 :: v_dual_add_f32 v11, v11, v7
	v_sub_f32_e32 v29, v7, v9
	v_fma_f32 v7, -0.5, v16, v23
	v_add_f32_e32 v16, v19, v20
	v_fma_f32 v23, -0.5, v21, v23
	v_dual_add_f32 v19, v22, v26 :: v_dual_add_f32 v22, v11, v9
	v_sub_f32_e32 v15, v15, v13
	s_delay_alu instid0(VALU_DEP_3) | instskip(SKIP_1) | instid1(VALU_DEP_4)
	v_fmamk_f32 v11, v18, 0xbf737871, v23
	v_fmac_f32_e32 v23, 0x3f737871, v18
	v_add_f32_e32 v13, v22, v13
	v_sub_f32_e32 v17, v8, v14
	v_add_f32_e32 v27, v24, v8
	s_delay_alu instid0(VALU_DEP_2)
	v_fmamk_f32 v9, v17, 0x3f737871, v7
	v_fmac_f32_e32 v7, 0xbf737871, v17
	v_fmac_f32_e32 v23, 0xbf167918, v17
	;; [unrolled: 1-line block ×3, first 2 shown]
	v_add_f32_e32 v33, v8, v14
	v_sub_f32_e32 v30, v8, v10
	s_delay_alu instid0(VALU_DEP_4) | instskip(SKIP_3) | instid1(VALU_DEP_4)
	v_dual_sub_f32 v34, v10, v8 :: v_dual_fmac_f32 v23, 0x3e9e377a, v19
	v_dual_fmac_f32 v7, 0xbf167918, v18 :: v_dual_add_f32 v28, v10, v12
	v_add_f32_e32 v10, v27, v10
	v_dual_sub_f32 v32, v14, v12 :: v_dual_fmac_f32 v9, 0x3f167918, v18
	v_add_f32_e32 v21, v34, v35
	s_delay_alu instid0(VALU_DEP_4)
	v_fma_f32 v8, -0.5, v28, v24
	v_fmac_f32_e32 v24, -0.5, v33
	v_add_f32_e32 v26, v10, v12
	v_add_f32_e32 v20, v30, v32
	v_fmac_f32_e32 v9, 0x3e9e377a, v16
	v_fmamk_f32 v10, v15, 0xbf737871, v8
	v_fmamk_f32 v12, v29, 0x3f737871, v24
	v_fmac_f32_e32 v24, 0xbf737871, v29
	v_fmac_f32_e32 v8, 0x3f737871, v15
	v_add_f32_e32 v14, v26, v14
	v_fmac_f32_e32 v10, 0xbf167918, v29
	v_fmac_f32_e32 v12, 0xbf167918, v15
	;; [unrolled: 1-line block ×4, first 2 shown]
	s_delay_alu instid0(VALU_DEP_4) | instskip(NEXT) | instid1(VALU_DEP_4)
	v_dual_fmac_f32 v11, 0x3e9e377a, v19 :: v_dual_fmac_f32 v10, 0x3e9e377a, v20
	v_fmac_f32_e32 v12, 0x3e9e377a, v21
	s_delay_alu instid0(VALU_DEP_4) | instskip(NEXT) | instid1(VALU_DEP_4)
	v_dual_fmac_f32 v24, 0x3e9e377a, v21 :: v_dual_fmac_f32 v7, 0x3e9e377a, v16
	v_fmac_f32_e32 v8, 0x3e9e377a, v20
	ds_store_2addr_b64 v1, v[13:14], v[9:10] offset1:25
	ds_store_2addr_b64 v1, v[11:12], v[23:24] offset0:50 offset1:75
	ds_store_b64 v1, v[7:8] offset:800
	s_waitcnt lgkmcnt(0)
	s_barrier
	buffer_gl0_inv
	s_clause 0x1
	global_load_b128 v[7:10], v25, s[4:5] offset:960
	global_load_b128 v[11:14], v25, s[4:5] offset:976
	v_mul_lo_u32 v1, v0, s14
	s_mulk_i32 s14, 0x7d
	ds_load_2addr_b64 v[15:18], v5 offset0:125 offset1:250
	ds_load_2addr_b64 v[19:22], v31 offset0:119 offset1:244
	ds_load_2addr_b32 v[31:32], v5 offset1:1
	s_lshl_b64 s[4:5], s[8:9], 3
	s_waitcnt vmcnt(0) lgkmcnt(0)
	s_add_u32 s3, s18, s4
	v_lshlrev_b64 v[23:24], 3, v[1:2]
	v_add_nc_u32_e32 v1, s14, v1
	s_addc_u32 s4, s19, s5
	s_lshl_b64 s[0:1], s[0:1], 3
	s_barrier
	s_add_u32 s2, s3, s0
	v_lshlrev_b64 v[25:26], 3, v[1:2]
	v_add_nc_u32_e32 v1, s14, v1
	buffer_gl0_inv
	s_addc_u32 s3, s4, s1
	s_lshl_b64 s[0:1], s[6:7], 3
	v_lshlrev_b64 v[27:28], 3, v[1:2]
	v_add_nc_u32_e32 v1, s14, v1
	s_add_u32 s0, s2, s0
	s_addc_u32 s1, s3, s1
	s_delay_alu instid0(VALU_DEP_1) | instskip(SKIP_1) | instid1(VALU_DEP_1)
	v_lshlrev_b64 v[29:30], 3, v[1:2]
	v_add_nc_u32_e32 v1, s14, v1
	v_lshlrev_b64 v[0:1], 3, v[1:2]
	v_mul_f32_e32 v2, v8, v16
	v_dual_mul_f32 v8, v8, v15 :: v_dual_mul_f32 v35, v14, v22
	v_mul_f32_e32 v14, v14, v21
	v_dual_mul_f32 v33, v10, v18 :: v_dual_mul_f32 v34, v12, v20
	s_delay_alu instid0(VALU_DEP_3) | instskip(SKIP_1) | instid1(VALU_DEP_4)
	v_fmac_f32_e32 v8, v7, v16
	v_mul_f32_e32 v12, v12, v19
	v_fmac_f32_e32 v14, v13, v22
	v_fma_f32 v2, v7, v15, -v2
	v_fma_f32 v7, v9, v17, -v33
	v_fma_f32 v13, v13, v21, -v35
	v_fmac_f32_e32 v12, v11, v20
	v_sub_f32_e32 v16, v8, v14
	s_delay_alu instid0(VALU_DEP_4) | instskip(NEXT) | instid1(VALU_DEP_4)
	v_dual_mul_f32 v10, v10, v17 :: v_dual_sub_f32 v21, v7, v2
	v_add_f32_e32 v20, v2, v13
	s_delay_alu instid0(VALU_DEP_2)
	v_fmac_f32_e32 v10, v9, v18
	v_fma_f32 v9, v11, v19, -v34
	v_add_f32_e32 v11, v2, v31
	v_sub_f32_e32 v18, v2, v7
	v_sub_f32_e32 v2, v2, v13
	;; [unrolled: 1-line block ×3, first 2 shown]
	v_add_f32_e32 v15, v7, v9
	v_sub_f32_e32 v19, v13, v9
	v_sub_f32_e32 v22, v9, v13
	;; [unrolled: 1-line block ×3, first 2 shown]
	v_add_f32_e32 v11, v11, v7
	v_fma_f32 v7, -0.5, v15, v31
	v_fma_f32 v31, -0.5, v20, v31
	v_dual_add_f32 v15, v18, v19 :: v_dual_add_f32 v18, v21, v22
	s_delay_alu instid0(VALU_DEP_4) | instskip(NEXT) | instid1(VALU_DEP_4)
	v_add_f32_e32 v21, v11, v9
	v_fmamk_f32 v9, v16, 0x3f737871, v7
	s_delay_alu instid0(VALU_DEP_4)
	v_fmamk_f32 v11, v17, 0xbf737871, v31
	v_fmac_f32_e32 v31, 0x3f737871, v17
	v_fmac_f32_e32 v7, 0xbf737871, v16
	v_add_f32_e32 v13, v21, v13
	v_fmac_f32_e32 v9, 0x3f167918, v17
	v_fmac_f32_e32 v11, 0x3f167918, v16
	;; [unrolled: 1-line block ×4, first 2 shown]
	v_add_f32_e32 v33, v32, v8
	v_add_f32_e32 v38, v8, v14
	v_sub_f32_e32 v36, v8, v10
	v_dual_fmac_f32 v31, 0x3e9e377a, v18 :: v_dual_add_f32 v34, v10, v12
	s_delay_alu instid0(VALU_DEP_4) | instskip(SKIP_1) | instid1(VALU_DEP_3)
	v_dual_sub_f32 v39, v10, v8 :: v_dual_add_f32 v10, v33, v10
	v_dual_sub_f32 v37, v14, v12 :: v_dual_sub_f32 v40, v12, v14
	v_fma_f32 v8, -0.5, v34, v32
	v_fmac_f32_e32 v32, -0.5, v38
	s_delay_alu instid0(VALU_DEP_3) | instskip(NEXT) | instid1(VALU_DEP_4)
	v_dual_add_f32 v22, v10, v12 :: v_dual_add_f32 v19, v36, v37
	v_add_f32_e32 v20, v39, v40
	s_delay_alu instid0(VALU_DEP_4) | instskip(NEXT) | instid1(VALU_DEP_4)
	v_fmamk_f32 v10, v2, 0xbf737871, v8
	v_fmamk_f32 v12, v35, 0x3f737871, v32
	v_fmac_f32_e32 v32, 0xbf737871, v35
	v_fmac_f32_e32 v8, 0x3f737871, v2
	v_add_f32_e32 v14, v22, v14
	v_fmac_f32_e32 v10, 0xbf167918, v35
	v_fmac_f32_e32 v12, 0xbf167918, v2
	;; [unrolled: 1-line block ×5, first 2 shown]
	v_dual_fmac_f32 v10, 0x3e9e377a, v19 :: v_dual_fmac_f32 v11, 0x3e9e377a, v18
	v_fmac_f32_e32 v12, 0x3e9e377a, v20
	v_dual_fmac_f32 v32, 0x3e9e377a, v20 :: v_dual_fmac_f32 v7, 0x3e9e377a, v15
	v_fmac_f32_e32 v8, 0x3e9e377a, v19
	ds_store_2addr_b64 v5, v[13:14], v[9:10] offset1:125
	ds_store_2addr_b64 v6, v[11:12], v[31:32] offset0:122 offset1:247
	ds_store_b64 v5, v[7:8] offset:4000
	s_waitcnt lgkmcnt(0)
	s_barrier
	buffer_gl0_inv
	ds_load_2addr_b64 v[5:8], v3 offset1:125
	ds_load_2addr_b64 v[9:12], v4 offset0:122 offset1:247
	ds_load_b64 v[2:3], v3 offset:4000
	v_add_co_u32 v13, vcc_lo, s0, v23
	v_add_co_ci_u32_e32 v14, vcc_lo, s1, v24, vcc_lo
	v_add_co_u32 v15, vcc_lo, s0, v25
	v_add_co_ci_u32_e32 v16, vcc_lo, s1, v26, vcc_lo
	;; [unrolled: 2-line block ×5, first 2 shown]
	s_waitcnt lgkmcnt(2)
	s_clause 0x1
	global_store_b64 v[13:14], v[5:6], off
	global_store_b64 v[15:16], v[7:8], off
	s_waitcnt lgkmcnt(1)
	s_clause 0x1
	global_store_b64 v[17:18], v[9:10], off
	global_store_b64 v[19:20], v[11:12], off
	s_waitcnt lgkmcnt(0)
	global_store_b64 v[0:1], v[2:3], off
	s_nop 0
	s_sendmsg sendmsg(MSG_DEALLOC_VGPRS)
	s_endpgm
	.section	.rodata,"a",@progbits
	.p2align	6, 0x0
	.amdhsa_kernel fft_rtc_fwd_len625_factors_5_5_5_5_wgs_125_tpt_125_sp_op_CI_CI_sbrc_z_xy_diag
		.amdhsa_group_segment_fixed_size 0
		.amdhsa_private_segment_fixed_size 0
		.amdhsa_kernarg_size 104
		.amdhsa_user_sgpr_count 15
		.amdhsa_user_sgpr_dispatch_ptr 0
		.amdhsa_user_sgpr_queue_ptr 0
		.amdhsa_user_sgpr_kernarg_segment_ptr 1
		.amdhsa_user_sgpr_dispatch_id 0
		.amdhsa_user_sgpr_private_segment_size 0
		.amdhsa_wavefront_size32 1
		.amdhsa_uses_dynamic_stack 0
		.amdhsa_enable_private_segment 0
		.amdhsa_system_sgpr_workgroup_id_x 1
		.amdhsa_system_sgpr_workgroup_id_y 0
		.amdhsa_system_sgpr_workgroup_id_z 0
		.amdhsa_system_sgpr_workgroup_info 0
		.amdhsa_system_vgpr_workitem_id 0
		.amdhsa_next_free_vgpr 41
		.amdhsa_next_free_sgpr 26
		.amdhsa_reserve_vcc 1
		.amdhsa_float_round_mode_32 0
		.amdhsa_float_round_mode_16_64 0
		.amdhsa_float_denorm_mode_32 3
		.amdhsa_float_denorm_mode_16_64 3
		.amdhsa_dx10_clamp 1
		.amdhsa_ieee_mode 1
		.amdhsa_fp16_overflow 0
		.amdhsa_workgroup_processor_mode 1
		.amdhsa_memory_ordered 1
		.amdhsa_forward_progress 0
		.amdhsa_shared_vgpr_count 0
		.amdhsa_exception_fp_ieee_invalid_op 0
		.amdhsa_exception_fp_denorm_src 0
		.amdhsa_exception_fp_ieee_div_zero 0
		.amdhsa_exception_fp_ieee_overflow 0
		.amdhsa_exception_fp_ieee_underflow 0
		.amdhsa_exception_fp_ieee_inexact 0
		.amdhsa_exception_int_div_zero 0
	.end_amdhsa_kernel
	.text
.Lfunc_end0:
	.size	fft_rtc_fwd_len625_factors_5_5_5_5_wgs_125_tpt_125_sp_op_CI_CI_sbrc_z_xy_diag, .Lfunc_end0-fft_rtc_fwd_len625_factors_5_5_5_5_wgs_125_tpt_125_sp_op_CI_CI_sbrc_z_xy_diag
                                        ; -- End function
	.section	.AMDGPU.csdata,"",@progbits
; Kernel info:
; codeLenInByte = 3496
; NumSgprs: 28
; NumVgprs: 41
; ScratchSize: 0
; MemoryBound: 0
; FloatMode: 240
; IeeeMode: 1
; LDSByteSize: 0 bytes/workgroup (compile time only)
; SGPRBlocks: 3
; VGPRBlocks: 5
; NumSGPRsForWavesPerEU: 28
; NumVGPRsForWavesPerEU: 41
; Occupancy: 16
; WaveLimiterHint : 1
; COMPUTE_PGM_RSRC2:SCRATCH_EN: 0
; COMPUTE_PGM_RSRC2:USER_SGPR: 15
; COMPUTE_PGM_RSRC2:TRAP_HANDLER: 0
; COMPUTE_PGM_RSRC2:TGID_X_EN: 1
; COMPUTE_PGM_RSRC2:TGID_Y_EN: 0
; COMPUTE_PGM_RSRC2:TGID_Z_EN: 0
; COMPUTE_PGM_RSRC2:TIDIG_COMP_CNT: 0
	.text
	.p2alignl 7, 3214868480
	.fill 96, 4, 3214868480
	.type	__hip_cuid_e6d328c3b205e423,@object ; @__hip_cuid_e6d328c3b205e423
	.section	.bss,"aw",@nobits
	.globl	__hip_cuid_e6d328c3b205e423
__hip_cuid_e6d328c3b205e423:
	.byte	0                               ; 0x0
	.size	__hip_cuid_e6d328c3b205e423, 1

	.ident	"AMD clang version 19.0.0git (https://github.com/RadeonOpenCompute/llvm-project roc-6.4.0 25133 c7fe45cf4b819c5991fe208aaa96edf142730f1d)"
	.section	".note.GNU-stack","",@progbits
	.addrsig
	.addrsig_sym __hip_cuid_e6d328c3b205e423
	.amdgpu_metadata
---
amdhsa.kernels:
  - .args:
      - .actual_access:  read_only
        .address_space:  global
        .offset:         0
        .size:           8
        .value_kind:     global_buffer
      - .offset:         8
        .size:           8
        .value_kind:     by_value
      - .actual_access:  read_only
        .address_space:  global
        .offset:         16
        .size:           8
        .value_kind:     global_buffer
      - .actual_access:  read_only
        .address_space:  global
        .offset:         24
        .size:           8
        .value_kind:     global_buffer
      - .actual_access:  read_only
        .address_space:  global
        .offset:         32
        .size:           8
        .value_kind:     global_buffer
      - .offset:         40
        .size:           8
        .value_kind:     by_value
      - .actual_access:  read_only
        .address_space:  global
        .offset:         48
        .size:           8
        .value_kind:     global_buffer
      - .actual_access:  read_only
        .address_space:  global
        .offset:         56
        .size:           8
        .value_kind:     global_buffer
      - .offset:         64
        .size:           4
        .value_kind:     by_value
      - .actual_access:  read_only
        .address_space:  global
        .offset:         72
        .size:           8
        .value_kind:     global_buffer
      - .actual_access:  read_only
        .address_space:  global
        .offset:         80
        .size:           8
        .value_kind:     global_buffer
      - .actual_access:  read_only
        .address_space:  global
        .offset:         88
        .size:           8
        .value_kind:     global_buffer
      - .actual_access:  write_only
        .address_space:  global
        .offset:         96
        .size:           8
        .value_kind:     global_buffer
    .group_segment_fixed_size: 0
    .kernarg_segment_align: 8
    .kernarg_segment_size: 104
    .language:       OpenCL C
    .language_version:
      - 2
      - 0
    .max_flat_workgroup_size: 125
    .name:           fft_rtc_fwd_len625_factors_5_5_5_5_wgs_125_tpt_125_sp_op_CI_CI_sbrc_z_xy_diag
    .private_segment_fixed_size: 0
    .sgpr_count:     28
    .sgpr_spill_count: 0
    .symbol:         fft_rtc_fwd_len625_factors_5_5_5_5_wgs_125_tpt_125_sp_op_CI_CI_sbrc_z_xy_diag.kd
    .uniform_work_group_size: 1
    .uses_dynamic_stack: false
    .vgpr_count:     41
    .vgpr_spill_count: 0
    .wavefront_size: 32
    .workgroup_processor_mode: 1
amdhsa.target:   amdgcn-amd-amdhsa--gfx1100
amdhsa.version:
  - 1
  - 2
...

	.end_amdgpu_metadata
